;; amdgpu-corpus repo=ROCm/rocFFT kind=compiled arch=gfx1030 opt=O3
	.text
	.amdgcn_target "amdgcn-amd-amdhsa--gfx1030"
	.amdhsa_code_object_version 6
	.protected	fft_rtc_fwd_len96_factors_3_4_8_wgs_192_tpt_8_dim2_sp_ip_CI_sbcc_twdbase8_2step_dirReg ; -- Begin function fft_rtc_fwd_len96_factors_3_4_8_wgs_192_tpt_8_dim2_sp_ip_CI_sbcc_twdbase8_2step_dirReg
	.globl	fft_rtc_fwd_len96_factors_3_4_8_wgs_192_tpt_8_dim2_sp_ip_CI_sbcc_twdbase8_2step_dirReg
	.p2align	8
	.type	fft_rtc_fwd_len96_factors_3_4_8_wgs_192_tpt_8_dim2_sp_ip_CI_sbcc_twdbase8_2step_dirReg,@function
fft_rtc_fwd_len96_factors_3_4_8_wgs_192_tpt_8_dim2_sp_ip_CI_sbcc_twdbase8_2step_dirReg: ; @fft_rtc_fwd_len96_factors_3_4_8_wgs_192_tpt_8_dim2_sp_ip_CI_sbcc_twdbase8_2step_dirReg
; %bb.0:
	s_load_dwordx4 s[0:3], s[4:5], 0x10
	s_mov_b64 s[20:21], 0
	s_waitcnt lgkmcnt(0)
	s_load_dwordx2 s[14:15], s[0:1], 0x8
	s_waitcnt lgkmcnt(0)
	s_add_u32 s0, s14, -1
	s_addc_u32 s1, s15, -1
	s_add_u32 s7, 0, 0xaaaa0000
	s_addc_u32 s8, 0, 42
	s_mul_hi_u32 s10, s7, 0xffffffe8
	s_add_i32 s8, s8, 0xaaaaa80
	s_sub_i32 s10, s10, s7
	s_mul_i32 s12, s8, 0xffffffe8
	s_mul_i32 s9, s7, 0xffffffe8
	s_add_i32 s10, s10, s12
	s_mul_hi_u32 s11, s7, s9
	s_mul_i32 s16, s7, s10
	s_mul_hi_u32 s12, s7, s10
	s_mul_hi_u32 s13, s8, s9
	s_mul_i32 s9, s8, s9
	s_add_u32 s11, s11, s16
	s_addc_u32 s12, 0, s12
	s_mul_hi_u32 s17, s8, s10
	s_add_u32 s9, s11, s9
	s_mul_i32 s10, s8, s10
	s_addc_u32 s9, s12, s13
	s_addc_u32 s11, s17, 0
	s_add_u32 s9, s9, s10
	v_add_co_u32 v1, s7, s7, s9
	s_addc_u32 s9, 0, s11
	s_cmp_lg_u32 s7, 0
	s_addc_u32 s7, s8, s9
	v_readfirstlane_b32 s8, v1
	s_mul_i32 s10, s0, s7
	s_mul_hi_u32 s9, s0, s7
	s_mul_hi_u32 s11, s1, s7
	s_mul_i32 s7, s1, s7
	s_mul_hi_u32 s12, s0, s8
	s_mul_hi_u32 s13, s1, s8
	s_mul_i32 s8, s1, s8
	s_add_u32 s10, s12, s10
	s_addc_u32 s9, 0, s9
	s_add_u32 s8, s10, s8
	s_addc_u32 s8, s9, s13
	s_addc_u32 s9, s11, 0
	s_add_u32 s8, s8, s7
	s_addc_u32 s9, 0, s9
	s_mul_i32 s10, s8, 24
	s_add_u32 s7, s8, 1
	v_sub_co_u32 v1, s0, s0, s10
	s_mul_hi_u32 s10, s8, 24
	s_addc_u32 s11, s9, 0
	s_mul_i32 s12, s9, 24
	v_sub_co_u32 v2, s13, v1, 24
	s_add_u32 s16, s8, 2
	s_addc_u32 s17, s9, 0
	s_add_i32 s10, s10, s12
	s_cmp_lg_u32 s0, 0
	v_readfirstlane_b32 s0, v2
	s_subb_u32 s1, s1, s10
	s_cmp_lg_u32 s13, 0
	s_load_dwordx2 s[12:13], s[2:3], 0x0
	s_subb_u32 s10, s1, 0
	s_cmp_gt_u32 s0, 23
	s_cselect_b32 s0, -1, 0
	s_cmp_eq_u32 s10, 0
	v_readfirstlane_b32 s10, v1
	s_cselect_b32 s0, s0, -1
	s_cmp_lg_u32 s0, 0
	s_cselect_b32 s0, s16, s7
	s_cselect_b32 s11, s17, s11
	s_cmp_gt_u32 s10, 23
	s_load_dwordx2 s[16:17], s[4:5], 0x50
	s_cselect_b32 s7, -1, 0
	s_cmp_eq_u32 s1, 0
	s_cselect_b32 s1, s7, -1
	s_mov_b32 s7, 0
	s_cmp_lg_u32 s1, 0
	s_cselect_b32 s0, s0, s8
	s_cselect_b32 s1, s11, s9
	s_add_u32 s0, s0, 1
	s_addc_u32 s1, s1, 0
	v_cmp_lt_u64_e64 s8, s[6:7], s[0:1]
	s_mov_b32 s7, -1
	s_and_b32 vcc_lo, exec_lo, s8
	s_cbranch_vccnz .LBB0_2
; %bb.1:
	v_cvt_f32_u32_e32 v1, s0
	s_sub_i32 s9, 0, s0
	v_rcp_iflag_f32_e32 v1, v1
	v_mul_f32_e32 v1, 0x4f7ffffe, v1
	v_cvt_u32_f32_e32 v1, v1
	v_readfirstlane_b32 s8, v1
	s_mul_i32 s9, s9, s8
	s_mul_hi_u32 s9, s8, s9
	s_add_i32 s8, s8, s9
	s_mul_hi_u32 s8, s6, s8
	s_mul_i32 s9, s8, s0
	s_add_i32 s10, s8, 1
	s_sub_i32 s9, s6, s9
	s_sub_i32 s11, s9, s0
	s_cmp_ge_u32 s9, s0
	s_cselect_b32 s8, s10, s8
	s_cselect_b32 s9, s11, s9
	s_add_i32 s10, s8, 1
	s_cmp_ge_u32 s9, s0
	s_cselect_b32 s20, s10, s8
.LBB0_2:
	s_load_dwordx4 s[8:11], s[2:3], 0x8
	v_mul_u32_u24_e32 v1, 0xaab, v0
	s_mul_i32 s1, s20, s1
	s_mul_hi_u32 s2, s20, s0
	s_mul_i32 s0, s20, s0
	s_add_i32 s2, s2, s1
	v_lshrrev_b32_e32 v83, 16, v1
	s_sub_u32 s0, s6, s0
	s_subb_u32 s1, 0, s2
	s_load_dwordx2 s[18:19], s[4:5], 0x0
	s_mul_hi_u32 s2, s0, 24
	v_mul_lo_u16 v1, v83, 24
	s_mul_i32 s1, s1, 24
	s_mul_i32 s6, s0, 24
	s_add_i32 s21, s2, s1
	v_or_b32_e32 v85, 32, v83
	v_sub_nc_u16 v25, v0, v1
	v_add_nc_u32_e32 v26, 8, v83
	v_or_b32_e32 v27, 16, v83
	v_or_b32_e32 v84, 0x50, v83
	s_waitcnt lgkmcnt(0)
	s_mul_i32 s1, s6, s9
	s_mul_hi_u32 s2, s6, s8
	s_mul_i32 s0, s21, s8
	s_mul_i32 s11, s11, s20
	s_mul_hi_u32 s22, s10, s20
	s_add_i32 s1, s2, s1
	s_mul_i32 s3, s6, s8
	s_mul_i32 s2, s10, s20
	s_add_i32 s1, s1, s0
	s_add_i32 s22, s22, s11
	s_add_u32 s2, s2, s3
	s_addc_u32 s3, s22, s1
	v_and_b32_e32 v86, 0xffff, v25
	s_add_u32 s0, s6, 24
	s_addc_u32 s1, s21, 0
	v_add_nc_u32_e32 v28, 24, v83
	v_cmp_gt_u64_e64 s10, s[0:1], s[14:15]
	v_add_co_u32 v29, s6, s6, v86
	v_cmp_le_u64_e64 s1, s[0:1], s[14:15]
	v_add_co_ci_u32_e64 v30, null, s21, 0, s6
	s_and_b32 vcc_lo, exec_lo, s10
	s_cbranch_vccnz .LBB0_4
; %bb.3:
	v_mad_u64_u32 v[1:2], null, s8, v86, 0
	v_mad_u64_u32 v[3:4], null, s12, v83, 0
	v_or_b32_e32 v13, 64, v83
	v_mad_u64_u32 v[5:6], null, s12, v85, 0
	v_add_nc_u32_e32 v59, 8, v83
	s_lshl_b64 s[6:7], s[2:3], 3
	v_add_nc_u32_e32 v20, 0x48, v83
	v_mad_u64_u32 v[7:8], null, s9, v86, v[2:3]
	v_mad_u64_u32 v[8:9], null, s12, v13, 0
	;; [unrolled: 1-line block ×3, first 2 shown]
	s_add_u32 s0, s16, s6
	s_addc_u32 s6, s17, s7
	v_mov_b32_e32 v2, v7
	v_mad_u64_u32 v[11:12], null, s12, v59, 0
	v_mov_b32_e32 v7, v9
	v_mov_b32_e32 v4, v10
	v_lshlrev_b64 v[1:2], 3, v[1:2]
	v_mad_u64_u32 v[17:18], null, s12, v20, 0
	v_mad_u64_u32 v[9:10], null, s13, v85, v[6:7]
	v_lshlrev_b64 v[3:4], 3, v[3:4]
	v_add_co_u32 v39, vcc_lo, s0, v1
	v_add_co_ci_u32_e32 v40, vcc_lo, s6, v2, vcc_lo
	v_mad_u64_u32 v[13:14], null, s13, v13, v[7:8]
	v_mov_b32_e32 v6, v9
	v_add_co_u32 v1, vcc_lo, v39, v3
	v_add_co_ci_u32_e32 v2, vcc_lo, v40, v4, vcc_lo
	v_lshlrev_b64 v[4:5], 3, v[5:6]
	v_mov_b32_e32 v3, v12
	v_add_nc_u32_e32 v10, 40, v83
	v_mov_b32_e32 v9, v13
	v_or_b32_e32 v32, 16, v83
	v_or_b32_e32 v23, 48, v83
	v_mad_u64_u32 v[6:7], null, s13, v59, v[3:4]
	v_mad_u64_u32 v[13:14], null, s12, v10, 0
	v_add_co_u32 v15, vcc_lo, v39, v4
	v_lshlrev_b64 v[3:4], 3, v[8:9]
	v_add_co_ci_u32_e32 v16, vcc_lo, v40, v5, vcc_lo
	v_mov_b32_e32 v12, v6
	v_mov_b32_e32 v5, v14
	v_add_nc_u32_e32 v31, 24, v83
	v_add_co_u32 v6, vcc_lo, v39, v3
	v_add_co_ci_u32_e32 v7, vcc_lo, v40, v4, vcc_lo
	v_lshlrev_b64 v[3:4], 3, v[11:12]
	v_mad_u64_u32 v[8:9], null, s13, v10, v[5:6]
	v_mov_b32_e32 v5, v18
	v_mad_u64_u32 v[11:12], null, s12, v32, 0
	v_add_co_u32 v18, vcc_lo, v39, v3
	v_add_co_ci_u32_e32 v19, vcc_lo, v40, v4, vcc_lo
	v_mov_b32_e32 v14, v8
	s_clause 0x3
	global_load_dwordx2 v[3:4], v[1:2], off
	global_load_dwordx2 v[9:10], v[15:16], off
	;; [unrolled: 1-line block ×4, first 2 shown]
	v_mad_u64_u32 v[20:21], null, s13, v20, v[5:6]
	v_mov_b32_e32 v5, v12
	v_lshlrev_b64 v[12:13], 3, v[13:14]
	v_mad_u64_u32 v[14:15], null, s12, v23, 0
	v_mad_u64_u32 v[21:22], null, s12, v84, 0
	;; [unrolled: 1-line block ×3, first 2 shown]
	v_add_co_u32 v19, vcc_lo, v39, v12
	v_mov_b32_e32 v18, v20
	v_add_nc_u32_e32 v38, 0x58, v83
	v_add_co_ci_u32_e32 v20, vcc_lo, v40, v13, vcc_lo
	v_mov_b32_e32 v12, v5
	v_mov_b32_e32 v5, v15
	v_lshlrev_b64 v[16:17], 3, v[17:18]
	v_add_nc_u32_e32 v18, 56, v83
	v_lshlrev_b64 v[11:12], 3, v[11:12]
	v_mad_u64_u32 v[5:6], null, s13, v23, v[5:6]
	v_mad_u64_u32 v[23:24], null, s12, v31, 0
	v_mov_b32_e32 v6, v22
	v_mad_u64_u32 v[33:34], null, s12, v18, 0
	v_add_co_u32 v16, vcc_lo, v39, v16
	v_mov_b32_e32 v15, v5
	v_add_co_ci_u32_e32 v17, vcc_lo, v40, v17, vcc_lo
	v_add_co_u32 v11, vcc_lo, v39, v11
	v_lshlrev_b64 v[13:14], 3, v[14:15]
	v_add_co_ci_u32_e32 v12, vcc_lo, v40, v12, vcc_lo
	v_add_co_u32 v13, vcc_lo, v39, v13
	v_add_co_ci_u32_e32 v14, vcc_lo, v40, v14, vcc_lo
	s_waitcnt vmcnt(1)
	v_mad_u64_u32 v[5:6], null, s13, v84, v[6:7]
	v_mov_b32_e32 v6, v24
	v_mad_u64_u32 v[35:36], null, s13, v31, v[6:7]
	v_mad_u64_u32 v[36:37], null, s12, v38, 0
	v_mov_b32_e32 v6, v34
	v_mov_b32_e32 v22, v5
	;; [unrolled: 1-line block ×3, first 2 shown]
	v_mad_u64_u32 v[5:6], null, s13, v18, v[6:7]
	v_mov_b32_e32 v6, v37
	v_lshlrev_b64 v[21:22], 3, v[21:22]
	v_lshlrev_b64 v[23:24], 3, v[23:24]
	v_mad_u64_u32 v[37:38], null, s13, v38, v[6:7]
	v_mov_b32_e32 v34, v5
	v_add_co_u32 v5, vcc_lo, v39, v21
	v_add_co_ci_u32_e32 v6, vcc_lo, v40, v22, vcc_lo
	v_lshlrev_b64 v[21:22], 3, v[33:34]
	v_add_co_u32 v33, vcc_lo, v39, v23
	v_add_co_ci_u32_e32 v34, vcc_lo, v40, v24, vcc_lo
	v_lshlrev_b64 v[23:24], 3, v[36:37]
	v_add_co_u32 v35, vcc_lo, v39, v21
	v_add_co_ci_u32_e32 v36, vcc_lo, v40, v22, vcc_lo
	v_add_co_u32 v37, vcc_lo, v39, v23
	v_add_co_ci_u32_e32 v38, vcc_lo, v40, v24, vcc_lo
	s_clause 0x7
	global_load_dwordx2 v[23:24], v[19:20], off
	global_load_dwordx2 v[21:22], v[16:17], off
	;; [unrolled: 1-line block ×8, first 2 shown]
	s_cbranch_execz .LBB0_5
	s_branch .LBB0_10
.LBB0_4:
                                        ; implicit-def: $vgpr17
                                        ; implicit-def: $vgpr13
                                        ; implicit-def: $vgpr15
                                        ; implicit-def: $vgpr5
                                        ; implicit-def: $vgpr19
                                        ; implicit-def: $vgpr11
                                        ; implicit-def: $vgpr21
                                        ; implicit-def: $vgpr23
                                        ; implicit-def: $vgpr1
                                        ; implicit-def: $vgpr7
                                        ; implicit-def: $vgpr9
                                        ; implicit-def: $vgpr3
                                        ; implicit-def: $vgpr59
                                        ; implicit-def: $vgpr32
                                        ; implicit-def: $vgpr31
	s_andn2_b32 vcc_lo, exec_lo, s7
	s_cbranch_vccnz .LBB0_10
.LBB0_5:
	s_mov_b32 s0, exec_lo
                                        ; implicit-def: $vgpr59
                                        ; implicit-def: $vgpr32
                                        ; implicit-def: $vgpr31
	v_cmpx_le_u64_e64 s[14:15], v[29:30]
	s_xor_b32 s0, exec_lo, s0
; %bb.6:
	v_add_nc_u32_e32 v59, 8, v83
	v_or_b32_e32 v32, 16, v83
	v_add_nc_u32_e32 v31, 24, v83
                                        ; implicit-def: $vgpr26
                                        ; implicit-def: $vgpr27
                                        ; implicit-def: $vgpr28
; %bb.7:
	s_or_saveexec_b32 s0, s0
                                        ; implicit-def: $vgpr17
                                        ; implicit-def: $vgpr13
                                        ; implicit-def: $vgpr15
                                        ; implicit-def: $vgpr5
                                        ; implicit-def: $vgpr19
                                        ; implicit-def: $vgpr11
                                        ; implicit-def: $vgpr21
                                        ; implicit-def: $vgpr23
                                        ; implicit-def: $vgpr1
                                        ; implicit-def: $vgpr7
                                        ; implicit-def: $vgpr9
                                        ; implicit-def: $vgpr3
	s_xor_b32 exec_lo, exec_lo, s0
	s_cbranch_execz .LBB0_9
; %bb.8:
	s_waitcnt vmcnt(8)
	v_mad_u64_u32 v[1:2], null, s8, v86, 0
	v_mad_u64_u32 v[3:4], null, s12, v83, 0
	s_waitcnt vmcnt(2)
	v_mad_u64_u32 v[5:6], null, s12, v85, 0
	s_waitcnt vmcnt(0)
	v_or_b32_e32 v14, 64, v83
	s_lshl_b64 s[6:7], s[2:3], 3
	v_add_nc_u32_e32 v20, 0x48, v83
	s_add_u32 s6, s16, s6
	v_mad_u64_u32 v[7:8], null, s9, v86, v[2:3]
	v_mov_b32_e32 v2, v6
	v_mad_u64_u32 v[8:9], null, s13, v83, v[4:5]
	v_mad_u64_u32 v[9:10], null, s12, v14, 0
	;; [unrolled: 1-line block ×3, first 2 shown]
	v_mov_b32_e32 v2, v7
	v_mad_u64_u32 v[12:13], null, s12, v26, 0
	s_addc_u32 s7, s17, s7
	v_mov_b32_e32 v7, v10
	v_lshlrev_b64 v[1:2], 3, v[1:2]
	v_mov_b32_e32 v6, v11
	v_add_nc_u32_e32 v11, 40, v83
	v_mov_b32_e32 v4, v8
	v_mad_u64_u32 v[18:19], null, s12, v27, 0
	v_add_co_u32 v36, vcc_lo, s6, v1
	v_add_co_ci_u32_e32 v37, vcc_lo, s7, v2, vcc_lo
	v_lshlrev_b64 v[1:2], 3, v[5:6]
	v_mad_u64_u32 v[6:7], null, s13, v14, v[7:8]
	v_mov_b32_e32 v5, v13
	v_mad_u64_u32 v[14:15], null, s12, v11, 0
	v_lshlrev_b64 v[3:4], 3, v[3:4]
	v_or_b32_e32 v22, 48, v83
	v_add_nc_u32_e32 v35, 0x58, v83
	v_mad_u64_u32 v[7:8], null, s13, v26, v[5:6]
	v_mov_b32_e32 v10, v6
	v_mov_b32_e32 v5, v15
	v_add_co_u32 v3, vcc_lo, v36, v3
	v_add_co_ci_u32_e32 v4, vcc_lo, v37, v4, vcc_lo
	v_mov_b32_e32 v13, v7
	v_lshlrev_b64 v[6:7], 3, v[9:10]
	v_add_co_u32 v1, vcc_lo, v36, v1
	v_add_co_ci_u32_e32 v2, vcc_lo, v37, v2, vcc_lo
	v_lshlrev_b64 v[8:9], 3, v[12:13]
	v_mad_u64_u32 v[10:11], null, s13, v11, v[5:6]
	v_mad_u64_u32 v[11:12], null, s12, v20, 0
	v_add_co_u32 v5, vcc_lo, v36, v6
	v_add_co_ci_u32_e32 v6, vcc_lo, v37, v7, vcc_lo
	v_add_co_u32 v16, vcc_lo, v36, v8
	v_mov_b32_e32 v7, v12
	v_add_co_ci_u32_e32 v17, vcc_lo, v37, v9, vcc_lo
	v_mov_b32_e32 v15, v10
	v_mad_u64_u32 v[33:34], null, s12, v35, 0
	v_mad_u64_u32 v[12:13], null, s13, v20, v[7:8]
	s_clause 0x3
	global_load_dwordx2 v[3:4], v[3:4], off
	global_load_dwordx2 v[9:10], v[1:2], off
	;; [unrolled: 1-line block ×4, first 2 shown]
	v_mov_b32_e32 v5, v19
	v_lshlrev_b64 v[13:14], 3, v[14:15]
	v_mad_u64_u32 v[15:16], null, s12, v22, 0
	v_mad_u64_u32 v[20:21], null, s12, v84, 0
	;; [unrolled: 1-line block ×3, first 2 shown]
	v_lshlrev_b64 v[11:12], 3, v[11:12]
	v_add_co_u32 v13, vcc_lo, v36, v13
	v_mov_b32_e32 v6, v16
	v_add_co_ci_u32_e32 v14, vcc_lo, v37, v14, vcc_lo
	v_mov_b32_e32 v19, v5
	v_add_co_u32 v11, vcc_lo, v36, v11
	v_add_co_ci_u32_e32 v12, vcc_lo, v37, v12, vcc_lo
	v_lshlrev_b64 v[17:18], 3, v[18:19]
	v_add_nc_u32_e32 v19, 56, v83
	v_mov_b32_e32 v59, v26
	v_mad_u64_u32 v[31:32], null, s12, v19, 0
	v_add_co_u32 v17, vcc_lo, v36, v17
	v_add_co_ci_u32_e32 v18, vcc_lo, v37, v18, vcc_lo
	s_waitcnt vmcnt(1)
	v_mad_u64_u32 v[5:6], null, s13, v22, v[6:7]
	v_mad_u64_u32 v[22:23], null, s12, v28, 0
	v_mov_b32_e32 v6, v21
	v_mov_b32_e32 v16, v5
	v_mad_u64_u32 v[5:6], null, s13, v84, v[6:7]
	v_mov_b32_e32 v6, v23
	v_lshlrev_b64 v[15:16], 3, v[15:16]
	v_mad_u64_u32 v[23:24], null, s13, v28, v[6:7]
	v_mov_b32_e32 v6, v32
	v_mov_b32_e32 v21, v5
	v_add_co_u32 v15, vcc_lo, v36, v15
	v_add_co_ci_u32_e32 v16, vcc_lo, v37, v16, vcc_lo
	v_mad_u64_u32 v[5:6], null, s13, v19, v[6:7]
	v_mov_b32_e32 v6, v34
	v_lshlrev_b64 v[19:20], 3, v[20:21]
	v_lshlrev_b64 v[21:22], 3, v[22:23]
	v_mad_u64_u32 v[34:35], null, s13, v35, v[6:7]
	v_mov_b32_e32 v32, v5
	v_add_co_u32 v5, vcc_lo, v36, v19
	v_add_co_ci_u32_e32 v6, vcc_lo, v37, v20, vcc_lo
	v_lshlrev_b64 v[19:20], 3, v[31:32]
	v_add_co_u32 v31, vcc_lo, v36, v21
	v_add_co_ci_u32_e32 v32, vcc_lo, v37, v22, vcc_lo
	v_lshlrev_b64 v[21:22], 3, v[33:34]
	v_add_co_u32 v33, vcc_lo, v36, v19
	v_add_co_ci_u32_e32 v34, vcc_lo, v37, v20, vcc_lo
	v_add_co_u32 v35, vcc_lo, v36, v21
	v_add_co_ci_u32_e32 v36, vcc_lo, v37, v22, vcc_lo
	s_clause 0x7
	global_load_dwordx2 v[23:24], v[13:14], off
	global_load_dwordx2 v[21:22], v[11:12], off
	;; [unrolled: 1-line block ×8, first 2 shown]
	v_mov_b32_e32 v32, v27
	v_mov_b32_e32 v31, v28
.LBB0_9:
	s_or_b32 exec_lo, exec_lo, s0
.LBB0_10:
	v_add_f32_e32 v26, v9, v7
	v_add_f32_e32 v27, v3, v9
	v_sub_f32_e32 v28, v10, v8
	v_add_f32_e32 v33, v10, v8
	v_add_f32_e32 v10, v4, v10
	v_fmac_f32_e32 v3, -0.5, v26
	s_waitcnt vmcnt(6)
	v_add_f32_e32 v34, v23, v21
	v_add_f32_e32 v26, v27, v7
	v_fmac_f32_e32 v4, -0.5, v33
	v_sub_f32_e32 v7, v9, v7
	v_add_f32_e32 v27, v10, v8
	v_add_f32_e32 v8, v1, v23
	v_fmac_f32_e32 v1, -0.5, v34
	v_sub_f32_e32 v10, v24, v22
	v_fmamk_f32 v34, v7, 0xbf5db3d7, v4
	v_fmac_f32_e32 v4, 0x3f5db3d7, v7
	v_add_f32_e32 v7, v8, v21
	v_add_f32_e32 v8, v24, v22
	;; [unrolled: 1-line block ×3, first 2 shown]
	v_fmamk_f32 v9, v10, 0x3f5db3d7, v1
	v_fmac_f32_e32 v1, 0xbf5db3d7, v10
	s_waitcnt vmcnt(3)
	v_add_f32_e32 v10, v19, v17
	v_fmac_f32_e32 v2, -0.5, v8
	v_sub_f32_e32 v21, v23, v21
	v_add_f32_e32 v8, v24, v22
	v_add_f32_e32 v22, v11, v17
	v_fmac_f32_e32 v11, -0.5, v10
	v_sub_f32_e32 v24, v18, v20
	v_fmamk_f32 v10, v21, 0xbf5db3d7, v2
	v_fmac_f32_e32 v2, 0x3f5db3d7, v21
	v_add_f32_e32 v21, v19, v22
	v_add_f32_e32 v22, v20, v18
	;; [unrolled: 1-line block ×3, first 2 shown]
	v_fmamk_f32 v33, v28, 0x3f5db3d7, v3
	v_fmac_f32_e32 v3, 0xbf5db3d7, v28
	v_fmamk_f32 v23, v24, 0x3f5db3d7, v11
	v_fmac_f32_e32 v11, 0xbf5db3d7, v24
	s_waitcnt vmcnt(0)
	v_add_f32_e32 v24, v15, v13
	v_fmac_f32_e32 v12, -0.5, v22
	v_sub_f32_e32 v17, v17, v19
	v_add_f32_e32 v22, v20, v18
	v_add_f32_e32 v18, v5, v15
	;; [unrolled: 1-line block ×3, first 2 shown]
	v_mov_b32_e32 v60, 3
	v_fmac_f32_e32 v5, -0.5, v24
	v_sub_f32_e32 v20, v16, v14
	v_fmamk_f32 v24, v17, 0xbf5db3d7, v12
	v_fmac_f32_e32 v12, 0x3f5db3d7, v17
	v_add_f32_e32 v17, v18, v13
	v_add_f32_e32 v16, v6, v16
	v_fmac_f32_e32 v6, -0.5, v28
	v_sub_f32_e32 v13, v15, v13
	v_mul_u32_u24_e32 v15, 0x240, v83
	v_lshlrev_b32_sdwa v28, v60, v25 dst_sel:DWORD dst_unused:UNUSED_PAD src0_sel:DWORD src1_sel:WORD_0
	v_mul_i32_i24_e32 v25, 0x240, v59
	v_add_f32_e32 v18, v16, v14
	v_fmamk_f32 v19, v20, 0x3f5db3d7, v5
	v_fmac_f32_e32 v5, 0xbf5db3d7, v20
	v_add3_u32 v16, 0, v15, v28
	v_fmamk_f32 v20, v13, 0xbf5db3d7, v6
	v_fmac_f32_e32 v6, 0x3f5db3d7, v13
	v_add3_u32 v13, 0, v25, v28
	v_mul_i32_i24_e32 v15, 0x240, v32
	ds_write2_b64 v16, v[26:27], v[33:34] offset1:24
	ds_write_b64 v16, v[3:4] offset:384
	ds_write2_b64 v13, v[7:8], v[9:10] offset1:24
	v_and_b32_e32 v4, 0xff, v59
	v_mul_lo_u16 v14, 0x56, v83
	v_add3_u32 v3, 0, v15, v28
	ds_write_b64 v13, v[1:2] offset:384
	v_mul_i32_i24_e32 v1, 0x240, v31
	v_mul_lo_u16 v7, 0xab, v4
	v_and_b32_e32 v4, 0xff, v32
	v_lshrrev_b16 v25, 8, v14
	ds_write2_b64 v3, v[21:22], v[23:24] offset1:24
	v_add3_u32 v21, 0, v1, v28
	v_lshrrev_b16 v23, 9, v7
	v_mul_lo_u16 v1, 0xab, v4
	v_mul_lo_u16 v2, v25, 3
	ds_write_b64 v3, v[11:12] offset:384
	ds_write2_b64 v21, v[17:18], v[19:20] offset1:24
	v_mul_lo_u16 v3, v23, 3
	v_lshrrev_b16 v17, 9, v1
	v_sub_nc_u16 v22, v83, v2
	ds_write_b64 v21, v[5:6] offset:384
	s_waitcnt lgkmcnt(0)
	v_sub_nc_u16 v45, v59, v3
	v_mul_lo_u16 v6, v17, 3
	v_mul_u32_u24_sdwa v2, v22, v60 dst_sel:DWORD dst_unused:UNUSED_PAD src0_sel:BYTE_0 src1_sel:DWORD
	s_barrier
	buffer_gl0_inv
	v_mul_u32_u24_sdwa v8, v45, v60 dst_sel:DWORD dst_unused:UNUSED_PAD src0_sel:BYTE_0 src1_sel:DWORD
	v_sub_nc_u16 v46, v32, v6
	v_lshlrev_b32_e32 v5, 3, v2
	v_mov_b32_e32 v19, 12
	v_mul_i32_i24_e32 v18, 0xc0, v32
	v_mad_i32_i24 v51, 0xfffffe80, v31, v21
	v_mul_u32_u24_sdwa v6, v46, v60 dst_sel:DWORD dst_unused:UNUSED_PAD src0_sel:BYTE_0 src1_sel:DWORD
	s_clause 0x1
	global_load_dwordx4 v[1:4], v5, s[18:19]
	global_load_dwordx2 v[35:36], v5, s[18:19] offset:16
	v_lshlrev_b32_e32 v5, 3, v8
	v_mul_u32_u24_sdwa v20, v25, v19 dst_sel:DWORD dst_unused:UNUSED_PAD src0_sel:WORD_0 src1_sel:DWORD
	v_lshlrev_b32_e32 v6, 3, v6
	v_add3_u32 v43, 0, v18, v28
	v_mul_u32_u24_sdwa v47, v23, v19 dst_sel:DWORD dst_unused:UNUSED_PAD src0_sel:WORD_0 src1_sel:DWORD
	s_clause 0x3
	global_load_dwordx4 v[8:11], v5, s[18:19]
	global_load_dwordx2 v[37:38], v5, s[18:19] offset:16
	global_load_dwordx4 v[12:15], v6, s[18:19]
	global_load_dwordx2 v[39:40], v6, s[18:19] offset:16
	v_mul_i32_i24_e32 v5, 0xc0, v59
	v_mul_u32_u24_sdwa v48, v17, v19 dst_sel:DWORD dst_unused:UNUSED_PAD src0_sel:WORD_0 src1_sel:DWORD
	v_or_b32_sdwa v49, v20, v22 dst_sel:DWORD dst_unused:UNUSED_PAD src0_sel:DWORD src1_sel:BYTE_0
	v_or_b32_sdwa v50, v47, v45 dst_sel:DWORD dst_unused:UNUSED_PAD src0_sel:DWORD src1_sel:BYTE_0
	v_cmp_gt_u32_e64 s0, 0x60, v0
	v_add3_u32 v6, 0, v5, v28
	v_mad_i32_i24 v5, 0xfffffe80, v83, v16
	ds_read2st64_b64 v[16:19], v5 offset1:12
	ds_read_b64 v[41:42], v51
	ds_read2st64_b64 v[20:23], v5 offset0:15 offset1:18
	ds_read2st64_b64 v[24:27], v5 offset0:27 offset1:30
	;; [unrolled: 1-line block ×3, first 2 shown]
	ds_read_b64 v[43:44], v43
	v_or_b32_sdwa v52, v48, v46 dst_sel:DWORD dst_unused:UNUSED_PAD src0_sel:DWORD src1_sel:BYTE_0
	ds_read_b64 v[45:46], v6
	ds_read_b64 v[47:48], v5 offset:16896
	v_mul_u32_u24_e32 v49, 0xc0, v49
	v_mul_u32_u24_e32 v50, 0xc0, v50
	v_add_nc_u32_e32 v53, 0x100, v5
	v_mul_u32_u24_e32 v52, 0xc0, v52
	s_waitcnt vmcnt(0) lgkmcnt(0)
	v_add3_u32 v49, 0, v49, v28
	v_add3_u32 v50, 0, v50, v28
	s_barrier
	v_add3_u32 v28, 0, v52, v28
	buffer_gl0_inv
	s_mov_b32 s6, 0
	v_mul_f32_e32 v52, v2, v42
	v_mul_f32_e32 v2, v2, v41
	;; [unrolled: 1-line block ×6, first 2 shown]
	v_fma_f32 v41, v1, v41, -v52
	v_fmac_f32_e32 v2, v1, v42
	v_fma_f32 v1, v3, v22, -v54
	v_fmac_f32_e32 v4, v3, v23
	;; [unrolled: 2-line block ×3, first 2 shown]
	v_mul_f32_e32 v22, v9, v19
	v_mul_f32_e32 v23, v9, v18
	;; [unrolled: 1-line block ×12, first 2 shown]
	v_fma_f32 v18, v8, v18, -v22
	v_fmac_f32_e32 v23, v8, v19
	v_fma_f32 v8, v31, v10, -v9
	v_fmac_f32_e32 v11, v32, v10
	;; [unrolled: 2-line block ×3, first 2 shown]
	v_fma_f32 v19, v20, v12, -v35
	v_fma_f32 v10, v33, v14, -v38
	v_fmac_f32_e32 v15, v34, v14
	v_sub_f32_e32 v14, v16, v1
	v_sub_f32_e32 v20, v17, v4
	;; [unrolled: 1-line block ×4, first 2 shown]
	v_fmac_f32_e32 v13, v21, v12
	v_fma_f32 v12, v47, v39, -v42
	v_fmac_f32_e32 v40, v48, v39
	v_fma_f32 v16, v16, 2.0, -v14
	v_fma_f32 v17, v17, 2.0, -v20
	;; [unrolled: 1-line block ×4, first 2 shown]
	v_sub_f32_e32 v1, v14, v1
	v_add_f32_e32 v2, v20, v3
	v_sub_f32_e32 v22, v45, v8
	v_sub_f32_e32 v24, v46, v11
	v_sub_f32_e32 v11, v18, v9
	v_sub_f32_e32 v25, v23, v25
	v_sub_f32_e32 v26, v43, v10
	v_sub_f32_e32 v27, v44, v15
	v_sub_f32_e32 v12, v19, v12
	v_sub_f32_e32 v15, v13, v40
	v_sub_f32_e32 v3, v16, v4
	v_sub_f32_e32 v4, v17, v21
	v_fma_f32 v8, v14, 2.0, -v1
	v_fma_f32 v9, v20, 2.0, -v2
	;; [unrolled: 1-line block ×6, first 2 shown]
	v_sub_f32_e32 v10, v22, v25
	v_fma_f32 v23, v43, 2.0, -v26
	v_fma_f32 v25, v44, 2.0, -v27
	;; [unrolled: 1-line block ×4, first 2 shown]
	v_add_f32_e32 v11, v24, v11
	v_sub_f32_e32 v33, v26, v15
	v_sub_f32_e32 v14, v20, v14
	;; [unrolled: 1-line block ×3, first 2 shown]
	v_add_f32_e32 v34, v27, v12
	v_sub_f32_e32 v35, v23, v19
	v_sub_f32_e32 v36, v25, v31
	v_fma_f32 v12, v16, 2.0, -v3
	v_fma_f32 v13, v17, 2.0, -v4
	;; [unrolled: 1-line block ×10, first 2 shown]
	ds_write2_b64 v49, v[3:4], v[1:2] offset0:144 offset1:216
	ds_write2_b64 v49, v[12:13], v[8:9] offset1:72
	ds_write2_b64 v50, v[14:15], v[10:11] offset0:144 offset1:216
	ds_write2_b64 v50, v[18:19], v[16:17] offset1:72
	ds_write2_b64 v28, v[31:32], v[37:38] offset1:72
	ds_write2_b64 v28, v[35:36], v[33:34] offset0:144 offset1:216
	s_waitcnt lgkmcnt(0)
	s_barrier
	buffer_gl0_inv
	ds_read2st64_b64 v[1:4], v53 offset0:4 offset1:13
	ds_read_b64 v[47:48], v5
	ds_read_b64 v[49:50], v5 offset:9216
	ds_read_b64 v[57:58], v5 offset:11520
	;; [unrolled: 1-line block ×3, first 2 shown]
	ds_read_b64 v[51:52], v51
	ds_read_b64 v[53:54], v5 offset:16128
                                        ; implicit-def: $vgpr44
                                        ; implicit-def: $vgpr46
                                        ; implicit-def: $vgpr40
                                        ; implicit-def: $vgpr42
	s_and_saveexec_b32 s7, s0
	s_cbranch_execz .LBB0_12
; %bb.11:
	ds_read_b64 v[37:38], v5 offset:3840
	ds_read_b64 v[35:36], v5 offset:6144
	ds_read_b64 v[33:34], v5 offset:8448
	ds_read_b64 v[43:44], v5 offset:10752
	ds_read_b64 v[45:46], v5 offset:13056
	ds_read_b64 v[39:40], v5 offset:15360
	ds_read_b64 v[31:32], v6
	ds_read_b64 v[41:42], v5 offset:17664
.LBB0_12:
	s_or_b32 exec_lo, exec_lo, s7
	v_mul_lo_u16 v0, v83, 22
	s_load_dwordx2 s[4:5], s[4:5], 0x8
	v_lshrrev_b16 v5, 11, v7
	s_andn2_b32 vcc_lo, exec_lo, s1
	v_lshrrev_b16 v0, 8, v0
	v_mul_lo_u16 v5, v5, 12
	v_mul_lo_u16 v0, v0, 12
	v_sub_nc_u16 v5, v59, v5
	v_sub_nc_u16 v0, v83, v0
	v_and_b32_e32 v87, 0xff, v0
	v_mul_u32_u24_e32 v0, 7, v87
	v_mul_lo_u32 v6, v29, v87
	v_add_nc_u32_e32 v93, 12, v87
	v_add_nc_u32_e32 v92, 24, v87
	v_or_b32_e32 v7, 48, v87
	v_lshlrev_b32_e32 v0, 3, v0
	v_add_nc_u32_e32 v91, 36, v87
	v_add_nc_u32_e32 v90, 60, v87
	;; [unrolled: 1-line block ×3, first 2 shown]
	v_mul_lo_u32 v8, v29, v93
	s_clause 0x2
	global_load_dwordx4 v[25:28], v0, s[18:19] offset:72
	global_load_dwordx4 v[17:20], v0, s[18:19] offset:88
	;; [unrolled: 1-line block ×3, first 2 shown]
	v_add_nc_u32_e32 v88, 0x54, v87
	v_mul_lo_u32 v13, v29, v92
	v_mul_lo_u32 v7, v29, v7
	v_bfe_u32 v16, v6, 8, 8
	v_mul_lo_u32 v14, v29, v91
	v_mul_lo_u32 v15, v29, v90
	v_mul_lo_u32 v21, v29, v89
	v_mul_lo_u32 v22, v29, v88
	v_lshlrev_b32_sdwa v6, v60, v6 dst_sel:DWORD dst_unused:UNUSED_PAD src0_sel:DWORD src1_sel:BYTE_0
	global_load_dwordx2 v[73:74], v0, s[18:19] offset:120
	v_lshl_or_b32 v0, v16, 3, 0x800
	v_lshlrev_b32_sdwa v16, v60, v8 dst_sel:DWORD dst_unused:UNUSED_PAD src0_sel:DWORD src1_sel:BYTE_0
	v_bfe_u32 v8, v8, 8, 8
	v_lshlrev_b32_sdwa v23, v60, v13 dst_sel:DWORD dst_unused:UNUSED_PAD src0_sel:DWORD src1_sel:BYTE_0
	v_bfe_u32 v13, v13, 8, 8
	;; [unrolled: 2-line block ×4, first 2 shown]
	s_waitcnt lgkmcnt(0)
	s_clause 0x1
	global_load_dwordx2 v[75:76], v6, s[4:5]
	global_load_dwordx2 v[77:78], v0, s[4:5]
	v_bfe_u32 v0, v15, 8, 8
	v_lshlrev_b32_sdwa v6, v60, v15 dst_sel:DWORD dst_unused:UNUSED_PAD src0_sel:DWORD src1_sel:BYTE_0
	v_bfe_u32 v15, v21, 8, 8
	v_lshl_or_b32 v8, v8, 3, 0x800
	v_bfe_u32 v62, v22, 8, 8
	v_lshl_or_b32 v13, v13, 3, 0x800
	v_lshl_or_b32 v7, v7, 3, 0x800
	v_lshlrev_b32_sdwa v21, v60, v21 dst_sel:DWORD dst_unused:UNUSED_PAD src0_sel:DWORD src1_sel:BYTE_0
	v_lshl_or_b32 v14, v14, 3, 0x800
	s_clause 0x5
	global_load_dwordx2 v[79:80], v16, s[4:5]
	global_load_dwordx2 v[81:82], v8, s[4:5]
	;; [unrolled: 1-line block ×6, first 2 shown]
	v_lshl_or_b32 v0, v0, 3, 0x800
	v_lshl_or_b32 v8, v15, 3, 0x800
	v_lshlrev_b32_sdwa v22, v60, v22 dst_sel:DWORD dst_unused:UNUSED_PAD src0_sel:DWORD src1_sel:BYTE_0
	s_clause 0x3
	global_load_dwordx2 v[102:103], v61, s[4:5]
	global_load_dwordx2 v[104:105], v7, s[4:5]
	;; [unrolled: 1-line block ×4, first 2 shown]
	v_lshl_or_b32 v0, v62, 3, 0x800
	s_clause 0x3
	global_load_dwordx2 v[110:111], v21, s[4:5]
	global_load_dwordx2 v[112:113], v8, s[4:5]
	;; [unrolled: 1-line block ×4, first 2 shown]
	v_and_b32_e32 v0, 0xff, v5
	v_mul_u32_u24_e32 v5, 7, v0
	v_mul_lo_u32 v6, v29, v0
	v_add_nc_u32_e32 v7, 12, v0
	v_add_nc_u32_e32 v8, 24, v0
	;; [unrolled: 1-line block ×3, first 2 shown]
	v_or_b32_e32 v14, 48, v0
	v_add_nc_u32_e32 v15, 60, v0
	v_add_nc_u32_e32 v16, 0x48, v0
	;; [unrolled: 1-line block ×3, first 2 shown]
	v_mul_lo_u32 v59, v29, v7
	v_mul_lo_u32 v61, v29, v8
	;; [unrolled: 1-line block ×3, first 2 shown]
	v_bfe_u32 v66, v6, 8, 8
	v_mul_lo_u32 v0, v29, v0
	v_mul_lo_u32 v63, v29, v14
	;; [unrolled: 1-line block ×4, first 2 shown]
	v_lshlrev_b32_sdwa v118, v60, v59 dst_sel:DWORD dst_unused:UNUSED_PAD src0_sel:DWORD src1_sel:BYTE_0
	v_bfe_u32 v59, v59, 8, 8
	v_lshlrev_b32_e32 v21, 3, v5
	v_lshlrev_b32_sdwa v67, v60, v6 dst_sel:DWORD dst_unused:UNUSED_PAD src0_sel:DWORD src1_sel:BYTE_0
	v_lshlrev_b32_sdwa v124, v60, v0 dst_sel:DWORD dst_unused:UNUSED_PAD src0_sel:DWORD src1_sel:BYTE_0
	v_bfe_u32 v0, v0, 8, 8
	v_lshlrev_b32_sdwa v119, v60, v61 dst_sel:DWORD dst_unused:UNUSED_PAD src0_sel:DWORD src1_sel:BYTE_0
	v_bfe_u32 v61, v61, 8, 8
	;; [unrolled: 2-line block ×3, first 2 shown]
	v_lshl_or_b32 v131, v0, 3, 0x800
	v_lshl_or_b32 v66, v66, 3, 0x800
	;; [unrolled: 1-line block ×3, first 2 shown]
	s_clause 0x3
	global_load_dwordx2 v[71:72], v21, s[18:19] offset:120
	global_load_dwordx4 v[5:8], v21, s[18:19] offset:104
	global_load_dwordx4 v[13:16], v21, s[18:19] offset:88
	;; [unrolled: 1-line block ×3, first 2 shown]
	v_lshlrev_b32_sdwa v121, v60, v63 dst_sel:DWORD dst_unused:UNUSED_PAD src0_sel:DWORD src1_sel:BYTE_0
	v_bfe_u32 v63, v63, 8, 8
	v_lshlrev_b32_sdwa v122, v60, v64 dst_sel:DWORD dst_unused:UNUSED_PAD src0_sel:DWORD src1_sel:BYTE_0
	v_bfe_u32 v64, v64, 8, 8
	;; [unrolled: 2-line block ×3, first 2 shown]
	v_lshl_or_b32 v126, v61, 3, 0x800
	v_lshl_or_b32 v127, v62, 3, 0x800
	s_clause 0x3
	global_load_dwordx2 v[67:68], v67, s[4:5]
	global_load_dwordx2 v[69:70], v66, s[4:5]
	;; [unrolled: 1-line block ×4, first 2 shown]
	v_lshl_or_b32 v128, v63, 3, 0x800
	v_lshl_or_b32 v129, v64, 3, 0x800
	;; [unrolled: 1-line block ×3, first 2 shown]
	s_waitcnt vmcnt(27)
	v_mul_f32_e32 v0, v28, v52
	v_mul_f32_e32 v132, v28, v51
	;; [unrolled: 1-line block ×3, first 2 shown]
	s_waitcnt vmcnt(26)
	v_mul_f32_e32 v134, v18, v3
	v_mul_f32_e32 v118, v20, v49
	v_fma_f32 v135, v27, v51, -v0
	v_mul_f32_e32 v0, v20, v50
	v_mul_f32_e32 v133, v26, v1
	;; [unrolled: 1-line block ×3, first 2 shown]
	v_fmac_f32_e32 v132, v27, v52
	v_fma_f32 v136, v25, v1, -v28
	v_fmac_f32_e32 v134, v17, v4
	s_waitcnt vmcnt(25)
	v_mul_f32_e32 v1, v10, v58
	v_mul_f32_e32 v4, v10, v57
	v_fma_f32 v137, v19, v49, -v0
	v_fmac_f32_e32 v118, v19, v50
	s_clause 0x3
	global_load_dwordx2 v[63:64], v119, s[4:5]
	global_load_dwordx2 v[65:66], v126, s[4:5]
	;; [unrolled: 1-line block ×4, first 2 shown]
	v_mul_f32_e32 v0, v12, v56
	v_mul_f32_e32 v119, v12, v55
	v_fmac_f32_e32 v133, v25, v2
	v_fma_f32 v125, v17, v3, -v26
	v_fma_f32 v57, v9, v57, -v1
	v_fmac_f32_e32 v4, v9, v58
	s_clause 0x3
	global_load_dwordx2 v[25:26], v121, s[4:5]
	global_load_dwordx2 v[27:28], v128, s[4:5]
	;; [unrolled: 1-line block ×4, first 2 shown]
	v_fma_f32 v55, v11, v55, -v0
	v_fmac_f32_e32 v119, v11, v56
	s_clause 0x3
	global_load_dwordx2 v[9:10], v123, s[4:5]
	global_load_dwordx2 v[11:12], v130, s[4:5]
	;; [unrolled: 1-line block ×4, first 2 shown]
	s_waitcnt vmcnt(36)
	v_mul_f32_e32 v56, v74, v54
	v_mul_f32_e32 v58, v74, v53
	s_waitcnt vmcnt(34)
	v_mul_f32_e32 v120, v75, v78
	v_sub_f32_e32 v55, v135, v55
	v_sub_f32_e32 v74, v132, v119
	v_fma_f32 v53, v73, v53, -v56
	v_fmac_f32_e32 v58, v73, v54
	v_mul_f32_e32 v54, v76, v78
	v_sub_f32_e32 v56, v47, v137
	v_sub_f32_e32 v73, v48, v118
	;; [unrolled: 1-line block ×6, first 2 shown]
	v_fma_f32 v118, v75, v77, -v54
	v_fmac_f32_e32 v120, v76, v77
	s_waitcnt vmcnt(32)
	v_mul_f32_e32 v54, v80, v82
	v_mul_f32_e32 v119, v79, v82
	s_waitcnt vmcnt(30)
	v_mul_f32_e32 v75, v95, v97
	v_mul_f32_e32 v76, v94, v97
	;; [unrolled: 3-line block ×3, first 2 shown]
	v_fma_f32 v97, v79, v81, -v54
	v_fmac_f32_e32 v119, v80, v81
	s_waitcnt vmcnt(26)
	v_mul_f32_e32 v54, v103, v105
	v_mul_f32_e32 v79, v102, v105
	s_waitcnt vmcnt(24)
	v_mul_f32_e32 v78, v107, v109
	v_mul_f32_e32 v80, v106, v109
	v_fma_f32 v75, v94, v96, -v75
	v_fmac_f32_e32 v76, v95, v96
	s_waitcnt vmcnt(22)
	v_mul_f32_e32 v81, v111, v113
	v_mul_f32_e32 v94, v110, v113
	s_waitcnt vmcnt(20)
	v_mul_f32_e32 v95, v115, v117
	v_fma_f32 v47, v47, 2.0, -v56
	v_fma_f32 v48, v48, 2.0, -v73
	v_mul_f32_e32 v96, v114, v117
	v_fma_f32 v101, v135, 2.0, -v55
	v_fma_f32 v105, v132, 2.0, -v74
	;; [unrolled: 1-line block ×6, first 2 shown]
	v_sub_f32_e32 v74, v56, v74
	v_add_f32_e32 v55, v73, v55
	v_sub_f32_e32 v58, v57, v58
	v_add_f32_e32 v53, v4, v53
	v_fma_f32 v98, v98, v100, -v77
	v_fmac_f32_e32 v82, v99, v100
	v_fma_f32 v99, v102, v104, -v54
	v_fmac_f32_e32 v79, v103, v104
	v_fma_f32 v100, v106, v108, -v78
	v_fma_f32 v77, v110, v112, -v81
	v_fma_f32 v81, v114, v116, -v95
	v_sub_f32_e32 v78, v47, v101
	v_sub_f32_e32 v95, v48, v105
	v_fma_f32 v101, v56, 2.0, -v74
	v_fma_f32 v73, v73, 2.0, -v55
	v_sub_f32_e32 v54, v109, v117
	v_sub_f32_e32 v56, v113, v121
	v_fma_f32 v57, v57, 2.0, -v58
	v_fma_f32 v4, v4, 2.0, -v53
	v_fmamk_f32 v102, v58, 0x3f3504f3, v74
	v_fmamk_f32 v103, v53, 0x3f3504f3, v55
	v_fmac_f32_e32 v80, v107, v108
	v_fmac_f32_e32 v94, v111, v112
	;; [unrolled: 1-line block ×3, first 2 shown]
	v_fma_f32 v104, v109, 2.0, -v54
	v_fma_f32 v105, v113, 2.0, -v56
	v_fmamk_f32 v106, v57, 0xbf3504f3, v101
	v_add_f32_e32 v107, v95, v54
	v_fmac_f32_e32 v102, 0xbf3504f3, v53
	v_fmamk_f32 v108, v4, 0xbf3504f3, v73
	v_sub_f32_e32 v53, v78, v56
	v_fmac_f32_e32 v103, 0x3f3504f3, v58
	v_fma_f32 v47, v47, 2.0, -v78
	v_fma_f32 v48, v48, 2.0, -v95
	v_fmac_f32_e32 v106, 0xbf3504f3, v4
	v_mul_f32_e32 v4, v107, v94
	v_fmac_f32_e32 v108, 0x3f3504f3, v57
	v_mul_f32_e32 v54, v53, v94
	v_sub_f32_e32 v57, v47, v104
	v_sub_f32_e32 v94, v48, v105
	v_fma_f32 v104, v78, 2.0, -v53
	v_fma_f32 v95, v95, 2.0, -v107
	;; [unrolled: 1-line block ×3, first 2 shown]
	v_mul_f32_e32 v58, v103, v96
	v_fma_f32 v109, v55, 2.0, -v103
	v_mul_f32_e32 v56, v102, v96
	v_fma_f32 v53, v53, v77, -v4
	v_mul_f32_e32 v4, v95, v76
	v_fma_f32 v55, v102, v81, -v58
	v_mul_f32_e32 v78, v104, v76
	v_mul_f32_e32 v96, v109, v82
	v_fmac_f32_e32 v56, v103, v81
	v_mul_f32_e32 v76, v105, v82
	v_mul_f32_e32 v81, v94, v79
	;; [unrolled: 1-line block ×3, first 2 shown]
	v_fma_f32 v47, v47, 2.0, -v57
	v_fma_f32 v48, v48, 2.0, -v94
	;; [unrolled: 1-line block ×3, first 2 shown]
	v_mul_f32_e32 v82, v108, v80
	v_fma_f32 v101, v73, 2.0, -v108
	v_fmac_f32_e32 v54, v107, v77
	v_mul_f32_e32 v74, v106, v80
	v_fma_f32 v77, v104, v75, -v4
	v_fmac_f32_e32 v58, v94, v99
	v_mul_f32_e32 v4, v48, v120
	v_fma_f32 v73, v106, v100, -v82
	v_mul_f32_e32 v82, v47, v120
	v_mul_f32_e32 v94, v101, v119
	;; [unrolled: 1-line block ×3, first 2 shown]
	v_fmac_f32_e32 v78, v95, v75
	v_fma_f32 v75, v105, v98, -v96
	v_fmac_f32_e32 v76, v109, v98
	v_fma_f32 v57, v57, v99, -v81
	;; [unrolled: 2-line block ×4, first 2 shown]
	v_fmac_f32_e32 v80, v101, v97
	s_cbranch_vccnz .LBB0_14
; %bb.13:
	v_mad_u64_u32 v[47:48], null, s8, v86, 0
	v_mad_u64_u32 v[94:95], null, s12, v87, 0
	;; [unrolled: 1-line block ×3, first 2 shown]
	s_lshl_b64 s[4:5], s[2:3], 3
	s_add_u32 s1, s16, s4
	v_mov_b32_e32 v4, v48
	v_mov_b32_e32 v48, v95
	s_addc_u32 s4, s17, s5
	s_and_b32 s6, s0, exec_lo
	s_waitcnt vmcnt(18)
	v_mad_u64_u32 v[98:99], null, s9, v86, v[4:5]
	v_mov_b32_e32 v4, v97
	s_waitcnt vmcnt(9)
	v_mad_u64_u32 v[99:100], null, s13, v87, v[48:49]
	v_mad_u64_u32 v[100:101], null, s12, v92, 0
	;; [unrolled: 1-line block ×3, first 2 shown]
	v_mov_b32_e32 v48, v98
	v_mov_b32_e32 v95, v99
	v_mad_u64_u32 v[98:99], null, s12, v91, 0
	v_lshlrev_b64 v[47:48], 3, v[47:48]
	v_mov_b32_e32 v4, v101
	v_mov_b32_e32 v97, v102
	v_lshlrev_b64 v[94:95], 3, v[94:95]
	v_add_co_u32 v47, vcc_lo, s1, v47
	v_mad_u64_u32 v[101:102], null, s13, v92, v[4:5]
	v_add_co_ci_u32_e32 v48, vcc_lo, s4, v48, vcc_lo
	v_lshlrev_b64 v[96:97], 3, v[96:97]
	v_mov_b32_e32 v4, v99
	v_add_co_u32 v94, vcc_lo, v47, v94
	v_add_co_ci_u32_e32 v95, vcc_lo, v48, v95, vcc_lo
	v_mad_u64_u32 v[102:103], null, s13, v91, v[4:5]
	v_add_co_u32 v96, vcc_lo, v47, v96
	v_add_co_ci_u32_e32 v97, vcc_lo, v48, v97, vcc_lo
	v_add_nc_u32_e32 v103, 48, v87
	global_store_dwordx2 v[94:95], v[81:82], off
	v_lshlrev_b64 v[94:95], 3, v[100:101]
	global_store_dwordx2 v[96:97], v[79:80], off
	v_mov_b32_e32 v99, v102
	v_mad_u64_u32 v[96:97], null, s12, v103, 0
	v_mad_u64_u32 v[100:101], null, s12, v90, 0
	v_add_co_u32 v94, vcc_lo, v47, v94
	v_lshlrev_b64 v[98:99], 3, v[98:99]
	v_add_co_ci_u32_e32 v95, vcc_lo, v48, v95, vcc_lo
	v_mov_b32_e32 v4, v97
	v_mov_b32_e32 v97, v101
	global_store_dwordx2 v[94:95], v[77:78], off
	v_add_co_u32 v94, vcc_lo, v47, v98
	v_add_co_ci_u32_e32 v95, vcc_lo, v48, v99, vcc_lo
	v_mad_u64_u32 v[98:99], null, s13, v103, v[4:5]
	v_mad_u64_u32 v[102:103], null, s12, v89, 0
	global_store_dwordx2 v[94:95], v[75:76], off
	v_mad_u64_u32 v[104:105], null, s13, v90, v[97:98]
	v_mad_u64_u32 v[105:106], null, s12, v88, 0
	v_mov_b32_e32 v97, v98
	v_mov_b32_e32 v4, v103
	;; [unrolled: 1-line block ×3, first 2 shown]
	v_lshlrev_b64 v[94:95], 3, v[96:97]
	v_mad_u64_u32 v[97:98], null, s13, v89, v[4:5]
	v_mov_b32_e32 v96, v106
	v_lshlrev_b64 v[98:99], 3, v[100:101]
	v_add_co_u32 v94, vcc_lo, v47, v94
	v_add_co_ci_u32_e32 v95, vcc_lo, v48, v95, vcc_lo
	v_mad_u64_u32 v[100:101], null, s13, v88, v[96:97]
	v_mov_b32_e32 v103, v97
	v_add_co_u32 v96, vcc_lo, v47, v98
	v_add_co_ci_u32_e32 v97, vcc_lo, v48, v99, vcc_lo
	global_store_dwordx2 v[94:95], v[57:58], off
	v_mov_b32_e32 v106, v100
	v_lshlrev_b64 v[94:95], 3, v[102:103]
	global_store_dwordx2 v[96:97], v[73:74], off
	v_lshlrev_b64 v[96:97], 3, v[105:106]
	v_add_co_u32 v94, vcc_lo, v47, v94
	v_add_co_ci_u32_e32 v95, vcc_lo, v48, v95, vcc_lo
	v_add_co_u32 v96, vcc_lo, v47, v96
	v_add_co_ci_u32_e32 v97, vcc_lo, v48, v97, vcc_lo
	global_store_dwordx2 v[94:95], v[53:54], off
	global_store_dwordx2 v[96:97], v[55:56], off
	s_cbranch_execz .LBB0_15
	s_branch .LBB0_18
.LBB0_14:
                                        ; implicit-def: $vgpr47_vgpr48
.LBB0_15:
	s_mov_b32 s1, exec_lo
                                        ; implicit-def: $vgpr47_vgpr48
	v_cmpx_gt_u64_e64 s[14:15], v[29:30]
	s_cbranch_execz .LBB0_17
; %bb.16:
	v_mad_u64_u32 v[29:30], null, s8, v86, 0
	v_mad_u64_u32 v[47:48], null, s12, v87, 0
	;; [unrolled: 1-line block ×3, first 2 shown]
	s_lshl_b64 s[2:3], s[2:3], 3
	s_add_u32 s2, s16, s2
	v_mov_b32_e32 v4, v30
	v_mov_b32_e32 v30, v48
	s_addc_u32 s3, s17, s3
	s_and_b32 s0, s0, exec_lo
	s_waitcnt vmcnt(18)
	v_mad_u64_u32 v[96:97], null, s9, v86, v[4:5]
	v_mov_b32_e32 v4, v95
	v_mad_u64_u32 v[97:98], null, s13, v87, v[30:31]
	v_mad_u64_u32 v[98:99], null, s12, v92, 0
	;; [unrolled: 1-line block ×3, first 2 shown]
	v_mov_b32_e32 v30, v96
	v_mov_b32_e32 v48, v97
	;; [unrolled: 1-line block ×3, first 2 shown]
	v_lshlrev_b64 v[29:30], 3, v[29:30]
	v_mov_b32_e32 v95, v100
	v_mad_u64_u32 v[100:101], null, s12, v91, 0
	v_lshlrev_b64 v[96:97], 3, v[47:48]
	v_mad_u64_u32 v[92:93], null, s13, v92, v[4:5]
	v_add_co_u32 v47, vcc_lo, s2, v29
	v_add_co_ci_u32_e32 v48, vcc_lo, s3, v30, vcc_lo
	v_lshlrev_b64 v[29:30], 3, v[94:95]
	v_mov_b32_e32 v4, v101
	v_add_co_u32 v93, vcc_lo, v47, v96
	v_add_co_ci_u32_e32 v94, vcc_lo, v48, v97, vcc_lo
	v_add_co_u32 v29, vcc_lo, v47, v29
	v_mov_b32_e32 v99, v92
	v_mad_u64_u32 v[91:92], null, s13, v91, v[4:5]
	v_add_co_ci_u32_e32 v30, vcc_lo, v48, v30, vcc_lo
	v_add_nc_u32_e32 v92, 48, v87
	global_store_dwordx2 v[93:94], v[81:82], off
	v_lshlrev_b64 v[81:82], 3, v[98:99]
	global_store_dwordx2 v[29:30], v[79:80], off
	v_mov_b32_e32 v101, v91
	v_mad_u64_u32 v[29:30], null, s12, v92, 0
	v_mad_u64_u32 v[86:87], null, s12, v90, 0
	v_add_co_u32 v79, vcc_lo, v47, v81
	v_add_co_ci_u32_e32 v80, vcc_lo, v48, v82, vcc_lo
	v_lshlrev_b64 v[81:82], 3, v[100:101]
	v_mov_b32_e32 v4, v30
	v_mov_b32_e32 v30, v87
	global_store_dwordx2 v[79:80], v[77:78], off
	s_andn2_b32 s2, s6, exec_lo
	v_mad_u64_u32 v[79:80], null, s13, v92, v[4:5]
	v_add_co_u32 v77, vcc_lo, v47, v81
	v_mad_u64_u32 v[80:81], null, s12, v89, 0
	v_mad_u64_u32 v[90:91], null, s13, v90, v[30:31]
	v_add_co_ci_u32_e32 v78, vcc_lo, v48, v82, vcc_lo
	v_mad_u64_u32 v[91:92], null, s12, v88, 0
	v_mov_b32_e32 v4, v81
	v_mov_b32_e32 v30, v79
	global_store_dwordx2 v[77:78], v[75:76], off
	v_mov_b32_e32 v87, v90
	s_or_b32 s6, s2, s0
	v_mad_u64_u32 v[76:77], null, s13, v89, v[4:5]
	v_mov_b32_e32 v75, v92
	v_lshlrev_b64 v[29:30], 3, v[29:30]
	v_lshlrev_b64 v[77:78], 3, v[86:87]
	v_mad_u64_u32 v[86:87], null, s13, v88, v[75:76]
	v_add_co_u32 v29, vcc_lo, v47, v29
	v_add_co_ci_u32_e32 v30, vcc_lo, v48, v30, vcc_lo
	v_mov_b32_e32 v81, v76
	v_add_co_u32 v75, vcc_lo, v47, v77
	v_mov_b32_e32 v92, v86
	global_store_dwordx2 v[29:30], v[57:58], off
	v_lshlrev_b64 v[29:30], 3, v[80:81]
	v_add_co_ci_u32_e32 v76, vcc_lo, v48, v78, vcc_lo
	v_lshlrev_b64 v[57:58], 3, v[91:92]
	v_add_co_u32 v29, vcc_lo, v47, v29
	v_add_co_ci_u32_e32 v30, vcc_lo, v48, v30, vcc_lo
	v_add_co_u32 v57, vcc_lo, v47, v57
	v_add_co_ci_u32_e32 v58, vcc_lo, v48, v58, vcc_lo
	global_store_dwordx2 v[75:76], v[73:74], off
	global_store_dwordx2 v[29:30], v[53:54], off
	;; [unrolled: 1-line block ×3, first 2 shown]
.LBB0_17:
	s_or_b32 exec_lo, exec_lo, s1
.LBB0_18:
	s_and_saveexec_b32 s0, s6
	s_cbranch_execnz .LBB0_20
; %bb.19:
	s_endpgm
.LBB0_20:
	s_waitcnt vmcnt(16)
	v_mul_f32_e32 v4, v38, v22
	v_mul_f32_e32 v22, v37, v22
	;; [unrolled: 1-line block ×5, first 2 shown]
	v_fma_f32 v4, v37, v21, -v4
	v_fmac_f32_e32 v22, v38, v21
	v_mul_f32_e32 v21, v34, v14
	v_mul_f32_e32 v14, v33, v14
	v_fma_f32 v29, v35, v23, -v29
	v_fmac_f32_e32 v24, v36, v23
	v_mul_f32_e32 v23, v44, v16
	v_fma_f32 v21, v33, v13, -v21
	v_fmac_f32_e32 v14, v34, v13
	v_mul_f32_e32 v13, v43, v16
	v_mul_f32_e32 v16, v46, v6
	;; [unrolled: 1-line block ×3, first 2 shown]
	v_fma_f32 v23, v43, v15, -v23
	v_mul_f32_e32 v8, v39, v8
	v_fmac_f32_e32 v13, v44, v15
	v_fma_f32 v15, v45, v5, -v16
	v_fmac_f32_e32 v6, v46, v5
	v_fma_f32 v5, v39, v7, -v30
	v_mul_f32_e32 v30, v41, v72
	v_mul_f32_e32 v16, v42, v72
	v_fmac_f32_e32 v8, v40, v7
	v_sub_f32_e32 v7, v31, v23
	v_sub_f32_e32 v15, v4, v15
	v_fmac_f32_e32 v30, v42, v71
	v_fma_f32 v16, v41, v71, -v16
	v_sub_f32_e32 v8, v24, v8
	v_sub_f32_e32 v13, v32, v13
	;; [unrolled: 1-line block ×6, first 2 shown]
	v_fma_f32 v24, v24, 2.0, -v8
	v_sub_f32_e32 v8, v7, v8
	v_fma_f32 v14, v14, 2.0, -v30
	v_sub_f32_e32 v30, v15, v30
	v_fma_f32 v23, v31, 2.0, -v7
	v_fma_f32 v31, v32, 2.0, -v13
	;; [unrolled: 1-line block ×6, first 2 shown]
	v_add_f32_e32 v5, v13, v5
	v_fma_f32 v7, v7, 2.0, -v8
	v_add_f32_e32 v16, v6, v16
	v_fma_f32 v15, v15, 2.0, -v30
	v_sub_f32_e32 v24, v31, v24
	v_fma_f32 v13, v13, 2.0, -v5
	v_sub_f32_e32 v14, v22, v14
	v_fma_f32 v6, v6, 2.0, -v16
	v_fmamk_f32 v32, v15, 0xbf3504f3, v7
	v_sub_f32_e32 v29, v23, v29
	v_sub_f32_e32 v21, v4, v21
	v_fma_f32 v31, v31, 2.0, -v24
	v_fma_f32 v22, v22, 2.0, -v14
	v_fmamk_f32 v33, v6, 0xbf3504f3, v13
	v_fmac_f32_e32 v32, 0xbf3504f3, v6
	v_fma_f32 v23, v23, 2.0, -v29
	v_fma_f32 v4, v4, 2.0, -v21
	v_sub_f32_e32 v22, v31, v22
	v_fmac_f32_e32 v33, 0x3f3504f3, v15
	v_fma_f32 v15, v7, 2.0, -v32
	s_waitcnt vmcnt(14)
	v_mul_f32_e32 v7, v67, v70
	v_sub_f32_e32 v34, v23, v4
	v_fma_f32 v6, v31, 2.0, -v22
	v_add_f32_e32 v31, v24, v21
	v_fmamk_f32 v35, v30, 0x3f3504f3, v8
	v_fmamk_f32 v36, v16, 0x3f3504f3, v5
	v_mul_f32_e32 v21, v68, v70
	v_fmac_f32_e32 v7, v68, v69
	v_fma_f32 v4, v23, 2.0, -v34
	v_sub_f32_e32 v23, v29, v14
	v_fmac_f32_e32 v35, 0xbf3504f3, v16
	v_fmac_f32_e32 v36, 0x3f3504f3, v30
	v_fma_f32 v16, v67, v69, -v21
	v_mul_f32_e32 v21, v6, v7
	s_waitcnt vmcnt(12)
	v_mul_f32_e32 v30, v59, v62
	v_fma_f32 v13, v13, 2.0, -v33
	v_fma_f32 v14, v29, 2.0, -v23
	;; [unrolled: 1-line block ×3, first 2 shown]
	v_mul_f32_e32 v5, v4, v7
	v_fma_f32 v4, v4, v16, -v21
	v_mul_f32_e32 v7, v60, v62
	s_waitcnt vmcnt(10)
	v_mul_f32_e32 v21, v63, v66
	v_fmac_f32_e32 v30, v60, v61
	v_fma_f32 v24, v24, 2.0, -v31
	v_fmac_f32_e32 v5, v6, v16
	v_mul_f32_e32 v6, v64, v66
	v_fma_f32 v16, v59, v61, -v7
	v_fmac_f32_e32 v21, v64, v65
	v_mul_f32_e32 v37, v13, v30
	s_waitcnt vmcnt(8)
	v_mul_f32_e32 v38, v49, v52
	v_mul_f32_e32 v7, v15, v30
	v_fma_f32 v30, v63, v65, -v6
	v_mul_f32_e32 v39, v24, v21
	v_fma_f32 v6, v15, v16, -v37
	v_mul_f32_e32 v15, v50, v52
	v_fmac_f32_e32 v38, v50, v51
	s_waitcnt vmcnt(6)
	v_mul_f32_e32 v37, v25, v28
	v_fma_f32 v8, v8, 2.0, -v35
	v_fmac_f32_e32 v7, v13, v16
	v_fma_f32 v13, v14, v30, -v39
	v_mul_f32_e32 v14, v14, v21
	v_fma_f32 v21, v49, v51, -v15
	v_mul_f32_e32 v15, v29, v38
	v_mul_f32_e32 v28, v26, v28
	v_fmac_f32_e32 v37, v26, v27
	v_mul_f32_e32 v16, v8, v38
	v_fmac_f32_e32 v14, v24, v30
	v_fma_f32 v15, v8, v21, -v15
	v_fma_f32 v8, v25, v27, -v28
	v_mul_f32_e32 v24, v22, v37
	s_waitcnt vmcnt(4)
	v_mul_f32_e32 v25, v17, v20
	v_fmac_f32_e32 v16, v29, v21
	v_mul_f32_e32 v21, v34, v37
	v_mul_f32_e32 v26, v18, v20
	v_fma_f32 v20, v34, v8, -v24
	s_waitcnt vmcnt(2)
	v_mul_f32_e32 v24, v9, v12
	v_fmac_f32_e32 v25, v18, v19
	v_fmac_f32_e32 v21, v22, v8
	v_fma_f32 v8, v17, v19, -v26
	v_mul_f32_e32 v12, v10, v12
	v_or_b32_e32 v19, 8, v83
	v_fmac_f32_e32 v24, v10, v11
	v_mul_f32_e32 v17, v33, v25
	v_mul_f32_e32 v10, v32, v25
	v_fma_f32 v25, v9, v11, -v12
	v_mad_u64_u32 v[11:12], null, s12, v19, 0
	v_mul_f32_e32 v18, v31, v24
	v_fma_f32 v9, v32, v8, -v17
	v_fmac_f32_e32 v10, v33, v8
	v_add_nc_u32_e32 v8, 20, v83
	s_waitcnt vmcnt(0)
	v_mul_f32_e32 v27, v0, v3
	v_fma_f32 v17, v23, v25, -v18
	v_mul_f32_e32 v18, v23, v24
	v_mul_f32_e32 v26, v1, v3
	v_mov_b32_e32 v3, v12
	v_mad_u64_u32 v[22:23], null, s12, v8, 0
	v_fmac_f32_e32 v27, v1, v2
	v_fmac_f32_e32 v18, v31, v25
	v_mad_u64_u32 v[24:25], null, s13, v19, v[3:4]
	v_fma_f32 v19, v0, v2, -v26
	v_mul_f32_e32 v25, v36, v27
	v_mov_b32_e32 v2, v23
	v_mul_f32_e32 v3, v35, v27
	v_mad_u64_u32 v[0:1], null, s12, v85, 0
	v_mov_b32_e32 v12, v24
	v_or_b32_e32 v26, 56, v83
	v_mad_u64_u32 v[23:24], null, s13, v8, v[2:3]
	v_fma_f32 v2, v35, v19, -v25
	v_fmac_f32_e32 v3, v36, v19
	v_add_nc_u32_e32 v19, 44, v83
	v_lshlrev_b64 v[11:12], 3, v[11:12]
	v_mad_u64_u32 v[24:25], null, s13, v85, v[1:2]
	v_lshlrev_b64 v[22:23], 3, v[22:23]
	v_add_co_u32 v11, vcc_lo, v47, v11
	v_add_co_ci_u32_e32 v12, vcc_lo, v48, v12, vcc_lo
	v_mov_b32_e32 v1, v24
	v_mad_u64_u32 v[24:25], null, s12, v19, 0
	global_store_dwordx2 v[11:12], v[4:5], off
	v_add_co_u32 v4, vcc_lo, v47, v22
	v_lshlrev_b64 v[0:1], 3, v[0:1]
	v_add_co_ci_u32_e32 v5, vcc_lo, v48, v23, vcc_lo
	v_mov_b32_e32 v8, v25
	v_mad_u64_u32 v[22:23], null, s12, v26, 0
	global_store_dwordx2 v[4:5], v[6:7], off
	v_add_co_u32 v0, vcc_lo, v47, v0
	v_mad_u64_u32 v[11:12], null, s13, v19, v[8:9]
	v_add_nc_u32_e32 v8, 0x44, v83
	v_add_co_ci_u32_e32 v1, vcc_lo, v48, v1, vcc_lo
	v_mad_u64_u32 v[6:7], null, s12, v84, 0
	v_mad_u64_u32 v[4:5], null, s12, v8, 0
	global_store_dwordx2 v[0:1], v[13:14], off
	v_mov_b32_e32 v0, v23
	v_mov_b32_e32 v25, v11
	v_mov_b32_e32 v1, v5
	v_lshlrev_b64 v[11:12], 3, v[24:25]
	v_mad_u64_u32 v[13:14], null, s13, v26, v[0:1]
	v_add_nc_u32_e32 v14, 0x5c, v83
	v_mad_u64_u32 v[0:1], null, s13, v8, v[1:2]
	v_mov_b32_e32 v1, v7
	v_add_co_u32 v7, vcc_lo, v47, v11
	v_mad_u64_u32 v[24:25], null, s12, v14, 0
	v_mov_b32_e32 v23, v13
	v_mov_b32_e32 v5, v0
	v_mad_u64_u32 v[0:1], null, s13, v84, v[1:2]
	v_add_co_ci_u32_e32 v8, vcc_lo, v48, v12, vcc_lo
	v_mov_b32_e32 v1, v25
	v_lshlrev_b64 v[11:12], 3, v[22:23]
	v_lshlrev_b64 v[4:5], 3, v[4:5]
	global_store_dwordx2 v[7:8], v[15:16], off
	v_mov_b32_e32 v7, v0
	v_mad_u64_u32 v[13:14], null, s13, v14, v[1:2]
	v_add_co_u32 v0, vcc_lo, v47, v11
	v_lshlrev_b64 v[6:7], 3, v[6:7]
	v_add_co_ci_u32_e32 v1, vcc_lo, v48, v12, vcc_lo
	v_add_co_u32 v4, vcc_lo, v47, v4
	v_mov_b32_e32 v25, v13
	v_add_co_ci_u32_e32 v5, vcc_lo, v48, v5, vcc_lo
	v_add_co_u32 v6, vcc_lo, v47, v6
	v_lshlrev_b64 v[11:12], 3, v[24:25]
	v_add_co_ci_u32_e32 v7, vcc_lo, v48, v7, vcc_lo
	v_add_co_u32 v11, vcc_lo, v47, v11
	v_add_co_ci_u32_e32 v12, vcc_lo, v48, v12, vcc_lo
	global_store_dwordx2 v[0:1], v[20:21], off
	global_store_dwordx2 v[4:5], v[9:10], off
	;; [unrolled: 1-line block ×4, first 2 shown]
	s_endpgm
	.section	.rodata,"a",@progbits
	.p2align	6, 0x0
	.amdhsa_kernel fft_rtc_fwd_len96_factors_3_4_8_wgs_192_tpt_8_dim2_sp_ip_CI_sbcc_twdbase8_2step_dirReg
		.amdhsa_group_segment_fixed_size 0
		.amdhsa_private_segment_fixed_size 0
		.amdhsa_kernarg_size 88
		.amdhsa_user_sgpr_count 6
		.amdhsa_user_sgpr_private_segment_buffer 1
		.amdhsa_user_sgpr_dispatch_ptr 0
		.amdhsa_user_sgpr_queue_ptr 0
		.amdhsa_user_sgpr_kernarg_segment_ptr 1
		.amdhsa_user_sgpr_dispatch_id 0
		.amdhsa_user_sgpr_flat_scratch_init 0
		.amdhsa_user_sgpr_private_segment_size 0
		.amdhsa_wavefront_size32 1
		.amdhsa_uses_dynamic_stack 0
		.amdhsa_system_sgpr_private_segment_wavefront_offset 0
		.amdhsa_system_sgpr_workgroup_id_x 1
		.amdhsa_system_sgpr_workgroup_id_y 0
		.amdhsa_system_sgpr_workgroup_id_z 0
		.amdhsa_system_sgpr_workgroup_info 0
		.amdhsa_system_vgpr_workitem_id 0
		.amdhsa_next_free_vgpr 138
		.amdhsa_next_free_sgpr 23
		.amdhsa_reserve_vcc 1
		.amdhsa_reserve_flat_scratch 0
		.amdhsa_float_round_mode_32 0
		.amdhsa_float_round_mode_16_64 0
		.amdhsa_float_denorm_mode_32 3
		.amdhsa_float_denorm_mode_16_64 3
		.amdhsa_dx10_clamp 1
		.amdhsa_ieee_mode 1
		.amdhsa_fp16_overflow 0
		.amdhsa_workgroup_processor_mode 1
		.amdhsa_memory_ordered 1
		.amdhsa_forward_progress 0
		.amdhsa_shared_vgpr_count 0
		.amdhsa_exception_fp_ieee_invalid_op 0
		.amdhsa_exception_fp_denorm_src 0
		.amdhsa_exception_fp_ieee_div_zero 0
		.amdhsa_exception_fp_ieee_overflow 0
		.amdhsa_exception_fp_ieee_underflow 0
		.amdhsa_exception_fp_ieee_inexact 0
		.amdhsa_exception_int_div_zero 0
	.end_amdhsa_kernel
	.text
.Lfunc_end0:
	.size	fft_rtc_fwd_len96_factors_3_4_8_wgs_192_tpt_8_dim2_sp_ip_CI_sbcc_twdbase8_2step_dirReg, .Lfunc_end0-fft_rtc_fwd_len96_factors_3_4_8_wgs_192_tpt_8_dim2_sp_ip_CI_sbcc_twdbase8_2step_dirReg
                                        ; -- End function
	.section	.AMDGPU.csdata,"",@progbits
; Kernel info:
; codeLenInByte = 8052
; NumSgprs: 25
; NumVgprs: 138
; ScratchSize: 0
; MemoryBound: 0
; FloatMode: 240
; IeeeMode: 1
; LDSByteSize: 0 bytes/workgroup (compile time only)
; SGPRBlocks: 3
; VGPRBlocks: 17
; NumSGPRsForWavesPerEU: 25
; NumVGPRsForWavesPerEU: 138
; Occupancy: 7
; WaveLimiterHint : 1
; COMPUTE_PGM_RSRC2:SCRATCH_EN: 0
; COMPUTE_PGM_RSRC2:USER_SGPR: 6
; COMPUTE_PGM_RSRC2:TRAP_HANDLER: 0
; COMPUTE_PGM_RSRC2:TGID_X_EN: 1
; COMPUTE_PGM_RSRC2:TGID_Y_EN: 0
; COMPUTE_PGM_RSRC2:TGID_Z_EN: 0
; COMPUTE_PGM_RSRC2:TIDIG_COMP_CNT: 0
	.text
	.p2alignl 6, 3214868480
	.fill 48, 4, 3214868480
	.type	__hip_cuid_43a5c9a3d03395c9,@object ; @__hip_cuid_43a5c9a3d03395c9
	.section	.bss,"aw",@nobits
	.globl	__hip_cuid_43a5c9a3d03395c9
__hip_cuid_43a5c9a3d03395c9:
	.byte	0                               ; 0x0
	.size	__hip_cuid_43a5c9a3d03395c9, 1

	.ident	"AMD clang version 19.0.0git (https://github.com/RadeonOpenCompute/llvm-project roc-6.4.0 25133 c7fe45cf4b819c5991fe208aaa96edf142730f1d)"
	.section	".note.GNU-stack","",@progbits
	.addrsig
	.addrsig_sym __hip_cuid_43a5c9a3d03395c9
	.amdgpu_metadata
---
amdhsa.kernels:
  - .args:
      - .actual_access:  read_only
        .address_space:  global
        .offset:         0
        .size:           8
        .value_kind:     global_buffer
      - .address_space:  global
        .offset:         8
        .size:           8
        .value_kind:     global_buffer
      - .actual_access:  read_only
        .address_space:  global
        .offset:         16
        .size:           8
        .value_kind:     global_buffer
      - .actual_access:  read_only
        .address_space:  global
        .offset:         24
        .size:           8
        .value_kind:     global_buffer
      - .offset:         32
        .size:           8
        .value_kind:     by_value
      - .actual_access:  read_only
        .address_space:  global
        .offset:         40
        .size:           8
        .value_kind:     global_buffer
      - .actual_access:  read_only
        .address_space:  global
        .offset:         48
        .size:           8
        .value_kind:     global_buffer
      - .offset:         56
        .size:           4
        .value_kind:     by_value
      - .actual_access:  read_only
        .address_space:  global
        .offset:         64
        .size:           8
        .value_kind:     global_buffer
      - .actual_access:  read_only
        .address_space:  global
        .offset:         72
        .size:           8
        .value_kind:     global_buffer
      - .address_space:  global
        .offset:         80
        .size:           8
        .value_kind:     global_buffer
    .group_segment_fixed_size: 0
    .kernarg_segment_align: 8
    .kernarg_segment_size: 88
    .language:       OpenCL C
    .language_version:
      - 2
      - 0
    .max_flat_workgroup_size: 192
    .name:           fft_rtc_fwd_len96_factors_3_4_8_wgs_192_tpt_8_dim2_sp_ip_CI_sbcc_twdbase8_2step_dirReg
    .private_segment_fixed_size: 0
    .sgpr_count:     25
    .sgpr_spill_count: 0
    .symbol:         fft_rtc_fwd_len96_factors_3_4_8_wgs_192_tpt_8_dim2_sp_ip_CI_sbcc_twdbase8_2step_dirReg.kd
    .uniform_work_group_size: 1
    .uses_dynamic_stack: false
    .vgpr_count:     138
    .vgpr_spill_count: 0
    .wavefront_size: 32
    .workgroup_processor_mode: 1
amdhsa.target:   amdgcn-amd-amdhsa--gfx1030
amdhsa.version:
  - 1
  - 2
...

	.end_amdgpu_metadata
